;; amdgpu-corpus repo=ROCm/bitsandbytes kind=harvested arch=n/a opt=n/a
	.text
	.amdgcn_target "amdgcn-amd-amdhsa--gfx90a"
	.amdhsa_code_object_version 6
	.protected	_Z38kPreconditionOptimizerStatic8bit1StateIfLi1EEvPT_S1_PhPffffiS3_S3_S3_ffi ; -- Begin function _Z38kPreconditionOptimizerStatic8bit1StateIfLi1EEvPT_S1_PhPffffiS3_S3_S3_ffi
	.globl	_Z38kPreconditionOptimizerStatic8bit1StateIfLi1EEvPT_S1_PhPffffiS3_S3_S3_ffi
	.p2align	8
	.type	_Z38kPreconditionOptimizerStatic8bit1StateIfLi1EEvPT_S1_PhPffffiS3_S3_S3_ffi,@function
_Z38kPreconditionOptimizerStatic8bit1StateIfLi1EEvPT_S1_PhPffffiS3_S3_S3_ffi: ; @_Z38kPreconditionOptimizerStatic8bit1StateIfLi1EEvPT_S1_PhPffffiS3_S3_S3_ffi
; %bb.0:
	s_load_dword s2, s[4:5], 0x58
	s_load_dword s3, s[4:5], 0x64
	s_movk_i32 s0, 0x100
	v_cmp_gt_u32_e32 vcc, s0, v0
	s_and_saveexec_b64 s[0:1], vcc
	s_cbranch_execz .LBB75_2
; %bb.1:
	s_load_dwordx2 s[8:9], s[4:5], 0x30
	v_lshlrev_b32_e32 v1, 2, v0
	s_waitcnt lgkmcnt(0)
	global_load_dword v2, v1, s[8:9]
	s_waitcnt vmcnt(0)
	ds_write_b32 v1, v2 offset:16896
.LBB75_2:
	s_or_b64 exec, exec, s[0:1]
	s_load_dword s7, s[4:5], 0x50
	s_waitcnt lgkmcnt(0)
	s_and_b32 s0, 0xffff, s3
	s_mul_i32 s0, s6, s0
	s_lshl_b32 s60, s2, 12
	s_lshl_b32 s8, s0, 2
	s_cmp_lt_u32 s8, s60
	s_mov_b32 s2, 0
	v_mbcnt_lo_u32_b32 v1, -1, 0
	s_barrier
	s_cbranch_scc1 .LBB75_4
; %bb.3:
	s_lshl_b32 s0, s6, 12
	s_sub_i32 s0, s7, s0
	s_min_u32 s33, s0, 0x1000
	v_and_b32_e32 v25, 0xc0, v0
	s_mov_b64 s[0:1], 0
	s_mov_b32 s3, 0xff7fffff
	s_branch .LBB75_5
.LBB75_4:
	s_mov_b64 s[0:1], -1
                                        ; implicit-def: $sgpr2
                                        ; implicit-def: $sgpr3
                                        ; implicit-def: $sgpr33
                                        ; implicit-def: $vgpr25
.LBB75_5:
	s_load_dwordx2 s[56:57], s[4:5], 0x18
	s_load_dwordx4 s[52:55], s[4:5], 0x38
	v_mbcnt_hi_u32_b32 v1, -1, v1
	s_andn2_b64 vcc, exec, s[0:1]
	v_mov_b32_e32 v24, s2
	v_mov_b32_e32 v53, s3
	s_cbranch_vccnz .LBB75_104
; %bb.6:
	s_load_dwordx4 s[0:3], s[4:5], 0x8
	s_load_dword s61, s[4:5], 0x20
	s_load_dword s6, s[4:5], 0x2c
	v_lshlrev_b32_e32 v2, 4, v0
	v_lshlrev_b32_e32 v3, 2, v1
	v_and_b32_e32 v2, 0xc00, v2
	s_waitcnt lgkmcnt(0)
	v_mov_b32_e32 v4, s1
	v_add_co_u32_e32 v3, vcc, s0, v3
	v_addc_co_u32_e32 v4, vcc, 0, v4, vcc
	v_lshlrev_b32_e32 v5, 2, v2
	v_add_co_u32_e32 v26, vcc, v3, v5
	v_addc_co_u32_e32 v27, vcc, 0, v4, vcc
	v_or_b32_e32 v28, v1, v2
	v_mov_b32_e32 v21, s3
	v_add_co_u32_e32 v22, vcc, s2, v1
	v_add_u32_e32 v29, 64, v28
	v_lshrrev_b32_e32 v3, 5, v28
	v_addc_co_u32_e32 v21, vcc, 0, v21, vcc
	v_or_b32_e32 v30, 0x80, v28
	v_lshrrev_b32_e32 v4, 5, v29
	v_add_co_u32_e32 v62, vcc, v22, v2
	v_and_b32_e32 v2, 0x60, v3
	v_add_u32_e32 v31, 0xc0, v28
	v_lshrrev_b32_e32 v5, 5, v30
	v_add_u32_e32 v64, v2, v28
	v_and_b32_e32 v2, 0x64, v4
	v_or_b32_e32 v32, 0x100, v28
	v_lshrrev_b32_e32 v6, 5, v31
	v_add_u32_e32 v65, v2, v29
	v_and_b32_e32 v2, 0x64, v5
	v_add_u32_e32 v33, 0x140, v28
	v_lshrrev_b32_e32 v7, 5, v32
	v_add_u32_e32 v66, v2, v30
	v_and_b32_e32 v2, 0x6c, v6
	v_or_b32_e32 v34, 0x180, v28
	v_lshrrev_b32_e32 v8, 5, v33
	v_add_u32_e32 v67, v2, v31
	;; [unrolled: 8-line block ×6, first 2 shown]
	v_and_b32_e32 v2, 0x78, v15
	v_add_u32_e32 v43, 0x3c0, v28
	v_lshrrev_b32_e32 v17, 5, v42
	v_and_b32_e32 v25, 0xc0, v0
	v_add_u32_e32 v76, v2, v40
	v_and_b32_e32 v2, 0x7c, v16
	v_lshrrev_b32_e32 v18, 5, v43
	v_add_u32_e32 v19, v1, v25
	v_add_u32_e32 v77, v2, v41
	v_and_b32_e32 v2, 0x7c, v17
	v_lshlrev_b32_e32 v20, 4, v19
	v_bfe_u32 v19, v19, 1, 27
	v_add_u32_e32 v78, v2, v42
	v_and_b32_e32 v2, 0xfc, v18
	s_cmp_lg_u32 s6, 1
	v_add_lshl_u32 v44, v3, v28, 2
	v_add_u32_e32 v79, v2, v43
	v_and_b32_e32 v2, 0xfc, v19
	s_cselect_b64 s[58:59], -1, 0
	s_cmp_eq_u64 s[56:57], 0
	v_mov_b32_e32 v3, 0
	s_mov_b32 s36, 0
	v_add_lshl_u32 v45, v4, v29, 2
	v_add_lshl_u32 v46, v5, v30, 2
	;; [unrolled: 1-line block ×16, first 2 shown]
	v_addc_co_u32_e32 v63, vcc, 0, v21, vcc
	v_add_u32_e32 v80, v2, v20
	s_cselect_b64 s[0:1], -1, 0
	s_sub_i32 s62, s7, s8
	v_mov_b32_e32 v2, s8
	v_mov_b32_e32 v53, 0xff7fffff
	;; [unrolled: 1-line block ×4, first 2 shown]
	s_branch .LBB75_8
.LBB75_7:                               ;   in Loop: Header=BB75_8 Depth=1
	s_waitcnt lgkmcnt(0)
	v_fma_f32 v4, v22, v22, v24
	v_fmac_f32_e32 v4, v23, v23
	v_fmac_f32_e32 v4, v20, v20
	v_fmac_f32_e32 v4, v21, v21
	v_fmac_f32_e32 v4, v18, v18
	v_fmac_f32_e32 v4, v19, v19
	v_fmac_f32_e32 v4, v16, v16
	v_fmac_f32_e32 v4, v17, v17
	v_fmac_f32_e32 v4, v14, v14
	v_max3_f32 v5, v53, |v22|, |v23|
	v_fmac_f32_e32 v4, v15, v15
	v_max3_f32 v5, v5, |v20|, |v21|
	v_fmac_f32_e32 v4, v12, v12
	;; [unrolled: 2-line block ×7, first 2 shown]
	v_add_co_u32_e32 v2, vcc, s60, v2
	v_cndmask_b32_e64 v24, v4, v24, s[0:1]
	v_max3_f32 v53, v5, |v8|, |v9|
	s_andn2_b64 vcc, exec, vcc
	s_sub_i32 s62, s62, s60
	s_cbranch_vccnz .LBB75_104
.LBB75_8:                               ; =>This Inner Loop Header: Depth=1
	v_lshlrev_b64 v[4:5], 2, v[2:3]
	v_add_co_u32_e32 v20, vcc, v26, v4
	s_mov_b32 s37, s36
	s_min_u32 s33, s62, 0x1000
	v_addc_co_u32_e32 v21, vcc, v27, v5, vcc
	s_mov_b32 s38, s36
	s_mov_b32 s39, s36
	;; [unrolled: 1-line block ×14, first 2 shown]
	v_pk_mov_b32 v[4:5], s[36:37], s[36:37] op_sel:[0,1]
	v_cmp_gt_u32_e64 s[30:31], s33, v28
	v_pk_mov_b32 v[6:7], s[38:39], s[38:39] op_sel:[0,1]
	v_pk_mov_b32 v[8:9], s[40:41], s[40:41] op_sel:[0,1]
	;; [unrolled: 1-line block ×7, first 2 shown]
	v_mov_b32_e32 v22, 0
	s_barrier
	s_and_saveexec_b64 s[2:3], s[30:31]
	s_cbranch_execnz .LBB75_58
; %bb.9:                                ;   in Loop: Header=BB75_8 Depth=1
	s_or_b64 exec, exec, s[2:3]
	v_cmp_gt_u32_e64 s[28:29], s33, v29
	s_and_saveexec_b64 s[2:3], s[28:29]
	s_cbranch_execnz .LBB75_59
.LBB75_10:                              ;   in Loop: Header=BB75_8 Depth=1
	s_or_b64 exec, exec, s[2:3]
	v_cmp_gt_u32_e64 s[26:27], s33, v30
	s_and_saveexec_b64 s[2:3], s[26:27]
	s_cbranch_execnz .LBB75_60
.LBB75_11:                              ;   in Loop: Header=BB75_8 Depth=1
	s_or_b64 exec, exec, s[2:3]
	v_cmp_gt_u32_e64 s[24:25], s33, v31
	s_and_saveexec_b64 s[2:3], s[24:25]
	s_cbranch_execnz .LBB75_61
.LBB75_12:                              ;   in Loop: Header=BB75_8 Depth=1
	s_or_b64 exec, exec, s[2:3]
	v_cmp_gt_u32_e64 s[22:23], s33, v32
	s_and_saveexec_b64 s[2:3], s[22:23]
	s_cbranch_execnz .LBB75_62
.LBB75_13:                              ;   in Loop: Header=BB75_8 Depth=1
	s_or_b64 exec, exec, s[2:3]
	v_cmp_gt_u32_e64 s[20:21], s33, v33
	s_and_saveexec_b64 s[2:3], s[20:21]
	s_cbranch_execnz .LBB75_63
.LBB75_14:                              ;   in Loop: Header=BB75_8 Depth=1
	s_or_b64 exec, exec, s[2:3]
	v_cmp_gt_u32_e64 s[18:19], s33, v34
	s_and_saveexec_b64 s[2:3], s[18:19]
	s_cbranch_execnz .LBB75_64
.LBB75_15:                              ;   in Loop: Header=BB75_8 Depth=1
	s_or_b64 exec, exec, s[2:3]
	v_cmp_gt_u32_e64 s[16:17], s33, v35
	s_and_saveexec_b64 s[2:3], s[16:17]
	s_cbranch_execnz .LBB75_65
.LBB75_16:                              ;   in Loop: Header=BB75_8 Depth=1
	s_or_b64 exec, exec, s[2:3]
	v_cmp_gt_u32_e64 s[14:15], s33, v36
	s_and_saveexec_b64 s[2:3], s[14:15]
	s_cbranch_execnz .LBB75_66
.LBB75_17:                              ;   in Loop: Header=BB75_8 Depth=1
	s_or_b64 exec, exec, s[2:3]
	v_cmp_gt_u32_e64 s[12:13], s33, v37
	s_and_saveexec_b64 s[2:3], s[12:13]
	s_cbranch_execnz .LBB75_67
.LBB75_18:                              ;   in Loop: Header=BB75_8 Depth=1
	s_or_b64 exec, exec, s[2:3]
	v_cmp_gt_u32_e64 s[10:11], s33, v38
	s_and_saveexec_b64 s[2:3], s[10:11]
	s_cbranch_execnz .LBB75_68
.LBB75_19:                              ;   in Loop: Header=BB75_8 Depth=1
	s_or_b64 exec, exec, s[2:3]
	v_cmp_gt_u32_e64 s[8:9], s33, v39
	s_and_saveexec_b64 s[2:3], s[8:9]
	s_cbranch_execnz .LBB75_69
.LBB75_20:                              ;   in Loop: Header=BB75_8 Depth=1
	s_or_b64 exec, exec, s[2:3]
	v_cmp_gt_u32_e64 s[6:7], s33, v40
	s_and_saveexec_b64 s[2:3], s[6:7]
	s_cbranch_execnz .LBB75_70
.LBB75_21:                              ;   in Loop: Header=BB75_8 Depth=1
	s_or_b64 exec, exec, s[2:3]
	v_cmp_gt_u32_e64 s[4:5], s33, v41
	s_and_saveexec_b64 s[2:3], s[4:5]
	s_cbranch_execnz .LBB75_71
.LBB75_22:                              ;   in Loop: Header=BB75_8 Depth=1
	s_or_b64 exec, exec, s[2:3]
	v_cmp_gt_u32_e64 s[2:3], s33, v42
	s_and_saveexec_b64 s[34:35], s[2:3]
	s_cbranch_execnz .LBB75_72
.LBB75_23:                              ;   in Loop: Header=BB75_8 Depth=1
	s_or_b64 exec, exec, s[34:35]
	v_cmp_gt_u32_e32 vcc, s33, v43
	s_and_saveexec_b64 s[34:35], vcc
	s_cbranch_execz .LBB75_25
.LBB75_24:                              ;   in Loop: Header=BB75_8 Depth=1
	global_load_dword v19, v[20:21], off offset:3840
.LBB75_25:                              ;   in Loop: Header=BB75_8 Depth=1
	s_or_b64 exec, exec, s[34:35]
	s_waitcnt vmcnt(0)
	ds_write_b32 v44, v22
	ds_write_b32 v45, v5
	;; [unrolled: 1-line block ×16, first 2 shown]
	; wave barrier
	ds_read2_b32 v[22:23], v61 offset1:1
	ds_read2_b32 v[20:21], v61 offset0:2 offset1:3
	ds_read2_b32 v[18:19], v61 offset0:4 offset1:5
	;; [unrolled: 1-line block ×7, first 2 shown]
	v_add_co_u32_e64 v4, s[34:35], v62, v2
	v_addc_co_u32_e64 v5, s[34:35], 0, v63, s[34:35]
	v_mov_b32_e32 v6, 0x80
	v_mov_b32_e32 v7, 0x80
	;; [unrolled: 1-line block ×15, first 2 shown]
	s_waitcnt lgkmcnt(0)
	s_barrier
	s_and_saveexec_b64 s[34:35], s[30:31]
	s_cbranch_execnz .LBB75_73
; %bb.26:                               ;   in Loop: Header=BB75_8 Depth=1
	s_or_b64 exec, exec, s[34:35]
	v_mov_b32_e32 v95, v6
	s_and_saveexec_b64 s[30:31], s[28:29]
	s_cbranch_execnz .LBB75_74
.LBB75_27:                              ;   in Loop: Header=BB75_8 Depth=1
	s_or_b64 exec, exec, s[30:31]
	s_and_saveexec_b64 s[28:29], s[26:27]
	s_cbranch_execnz .LBB75_75
.LBB75_28:                              ;   in Loop: Header=BB75_8 Depth=1
	s_or_b64 exec, exec, s[28:29]
	s_and_saveexec_b64 s[26:27], s[24:25]
	s_cbranch_execnz .LBB75_76
.LBB75_29:                              ;   in Loop: Header=BB75_8 Depth=1
	s_or_b64 exec, exec, s[26:27]
	s_and_saveexec_b64 s[24:25], s[22:23]
	s_cbranch_execnz .LBB75_77
.LBB75_30:                              ;   in Loop: Header=BB75_8 Depth=1
	s_or_b64 exec, exec, s[24:25]
	s_and_saveexec_b64 s[22:23], s[20:21]
	s_cbranch_execnz .LBB75_78
.LBB75_31:                              ;   in Loop: Header=BB75_8 Depth=1
	s_or_b64 exec, exec, s[22:23]
	s_and_saveexec_b64 s[20:21], s[18:19]
	s_cbranch_execnz .LBB75_79
.LBB75_32:                              ;   in Loop: Header=BB75_8 Depth=1
	s_or_b64 exec, exec, s[20:21]
	s_and_saveexec_b64 s[18:19], s[16:17]
	s_cbranch_execnz .LBB75_80
.LBB75_33:                              ;   in Loop: Header=BB75_8 Depth=1
	s_or_b64 exec, exec, s[18:19]
	s_and_saveexec_b64 s[16:17], s[14:15]
	s_cbranch_execnz .LBB75_81
.LBB75_34:                              ;   in Loop: Header=BB75_8 Depth=1
	s_or_b64 exec, exec, s[16:17]
	s_and_saveexec_b64 s[14:15], s[12:13]
	s_cbranch_execnz .LBB75_82
.LBB75_35:                              ;   in Loop: Header=BB75_8 Depth=1
	s_or_b64 exec, exec, s[14:15]
	s_and_saveexec_b64 s[12:13], s[10:11]
	s_cbranch_execnz .LBB75_83
.LBB75_36:                              ;   in Loop: Header=BB75_8 Depth=1
	s_or_b64 exec, exec, s[12:13]
	s_and_saveexec_b64 s[10:11], s[8:9]
	s_cbranch_execnz .LBB75_84
.LBB75_37:                              ;   in Loop: Header=BB75_8 Depth=1
	s_or_b64 exec, exec, s[10:11]
	s_and_saveexec_b64 s[8:9], s[6:7]
	s_cbranch_execnz .LBB75_85
.LBB75_38:                              ;   in Loop: Header=BB75_8 Depth=1
	s_or_b64 exec, exec, s[8:9]
	s_and_saveexec_b64 s[6:7], s[4:5]
	s_cbranch_execnz .LBB75_86
.LBB75_39:                              ;   in Loop: Header=BB75_8 Depth=1
	s_or_b64 exec, exec, s[6:7]
	s_and_saveexec_b64 s[4:5], s[2:3]
	s_cbranch_execnz .LBB75_87
.LBB75_40:                              ;   in Loop: Header=BB75_8 Depth=1
	s_or_b64 exec, exec, s[4:5]
	s_and_saveexec_b64 s[2:3], vcc
	s_cbranch_execz .LBB75_42
.LBB75_41:                              ;   in Loop: Header=BB75_8 Depth=1
	global_load_ubyte v94, v[4:5], off offset:960
.LBB75_42:                              ;   in Loop: Header=BB75_8 Depth=1
	s_or_b64 exec, exec, s[2:3]
	s_waitcnt vmcnt(0)
	ds_write_b8 v64, v7
	ds_write_b8 v65, v95
	ds_write_b8 v66, v6
	ds_write_b8 v67, v82
	ds_write_b8 v68, v83
	ds_write_b8 v69, v84
	ds_write_b8 v70, v85
	ds_write_b8 v71, v86
	ds_write_b8 v72, v87
	ds_write_b8 v73, v88
	ds_write_b8 v74, v89
	ds_write_b8 v75, v90
	ds_write_b8 v76, v91
	ds_write_b8 v77, v92
	ds_write_b8 v78, v93
	ds_write_b8 v79, v94
	; wave barrier
	ds_read_b96 v[4:6], v80 offset:1
	ds_read_u8 v83, v80 offset:13
	ds_read_u8 v82, v80 offset:14
	;; [unrolled: 1-line block ×3, first 2 shown]
	s_load_dword s4, s[52:53], 0x0
	v_cndmask_b32_e64 v84, 0, 1, s[58:59]
	v_cmp_ne_u32_e64 s[2:3], 1, v84
	s_andn2_b64 vcc, exec, s[58:59]
	s_cbranch_vccz .LBB75_88
; %bb.43:                               ;   in Loop: Header=BB75_8 Depth=1
	s_and_b64 vcc, exec, s[2:3]
	s_cbranch_vccz .LBB75_89
.LBB75_44:                              ;   in Loop: Header=BB75_8 Depth=1
	s_and_b64 vcc, exec, s[2:3]
	s_cbranch_vccz .LBB75_90
.LBB75_45:                              ;   in Loop: Header=BB75_8 Depth=1
	s_and_b64 vcc, exec, s[2:3]
	s_cbranch_vccz .LBB75_91
.LBB75_46:                              ;   in Loop: Header=BB75_8 Depth=1
	s_and_b64 vcc, exec, s[2:3]
	s_cbranch_vccz .LBB75_92
.LBB75_47:                              ;   in Loop: Header=BB75_8 Depth=1
	s_and_b64 vcc, exec, s[2:3]
	s_cbranch_vccz .LBB75_93
.LBB75_48:                              ;   in Loop: Header=BB75_8 Depth=1
	s_and_b64 vcc, exec, s[2:3]
	s_cbranch_vccz .LBB75_94
.LBB75_49:                              ;   in Loop: Header=BB75_8 Depth=1
	s_and_b64 vcc, exec, s[2:3]
	s_cbranch_vccz .LBB75_95
.LBB75_50:                              ;   in Loop: Header=BB75_8 Depth=1
	s_and_b64 vcc, exec, s[2:3]
	s_cbranch_vccz .LBB75_96
.LBB75_51:                              ;   in Loop: Header=BB75_8 Depth=1
	s_and_b64 vcc, exec, s[2:3]
	s_cbranch_vccz .LBB75_97
.LBB75_52:                              ;   in Loop: Header=BB75_8 Depth=1
	s_and_b64 vcc, exec, s[2:3]
	s_cbranch_vccz .LBB75_98
.LBB75_53:                              ;   in Loop: Header=BB75_8 Depth=1
	s_and_b64 vcc, exec, s[2:3]
	s_cbranch_vccz .LBB75_99
.LBB75_54:                              ;   in Loop: Header=BB75_8 Depth=1
	s_and_b64 vcc, exec, s[2:3]
	s_cbranch_vccz .LBB75_100
.LBB75_55:                              ;   in Loop: Header=BB75_8 Depth=1
	s_and_b64 vcc, exec, s[2:3]
	s_cbranch_vccz .LBB75_101
.LBB75_56:                              ;   in Loop: Header=BB75_8 Depth=1
	s_and_b64 vcc, exec, s[2:3]
	s_cbranch_vccz .LBB75_102
.LBB75_57:                              ;   in Loop: Header=BB75_8 Depth=1
	s_and_b64 vcc, exec, s[2:3]
	s_cbranch_vccnz .LBB75_7
	s_branch .LBB75_103
.LBB75_58:                              ;   in Loop: Header=BB75_8 Depth=1
	global_load_dword v22, v[20:21], off
	v_mov_b32_e32 v4, v3
	v_mov_b32_e32 v5, v3
	;; [unrolled: 1-line block ×14, first 2 shown]
	v_pk_mov_b32 v[18:19], v[16:17], v[16:17] op_sel:[0,1]
	v_pk_mov_b32 v[16:17], v[14:15], v[14:15] op_sel:[0,1]
	;; [unrolled: 1-line block ×8, first 2 shown]
	s_or_b64 exec, exec, s[2:3]
	v_cmp_gt_u32_e64 s[28:29], s33, v29
	s_and_saveexec_b64 s[2:3], s[28:29]
	s_cbranch_execz .LBB75_10
.LBB75_59:                              ;   in Loop: Header=BB75_8 Depth=1
	global_load_dword v5, v[20:21], off offset:256
	s_or_b64 exec, exec, s[2:3]
	v_cmp_gt_u32_e64 s[26:27], s33, v30
	s_and_saveexec_b64 s[2:3], s[26:27]
	s_cbranch_execz .LBB75_11
.LBB75_60:                              ;   in Loop: Header=BB75_8 Depth=1
	global_load_dword v6, v[20:21], off offset:512
	s_or_b64 exec, exec, s[2:3]
	v_cmp_gt_u32_e64 s[24:25], s33, v31
	s_and_saveexec_b64 s[2:3], s[24:25]
	s_cbranch_execz .LBB75_12
.LBB75_61:                              ;   in Loop: Header=BB75_8 Depth=1
	global_load_dword v7, v[20:21], off offset:768
	s_or_b64 exec, exec, s[2:3]
	v_cmp_gt_u32_e64 s[22:23], s33, v32
	s_and_saveexec_b64 s[2:3], s[22:23]
	s_cbranch_execz .LBB75_13
.LBB75_62:                              ;   in Loop: Header=BB75_8 Depth=1
	global_load_dword v8, v[20:21], off offset:1024
	s_or_b64 exec, exec, s[2:3]
	v_cmp_gt_u32_e64 s[20:21], s33, v33
	s_and_saveexec_b64 s[2:3], s[20:21]
	s_cbranch_execz .LBB75_14
.LBB75_63:                              ;   in Loop: Header=BB75_8 Depth=1
	global_load_dword v9, v[20:21], off offset:1280
	s_or_b64 exec, exec, s[2:3]
	v_cmp_gt_u32_e64 s[18:19], s33, v34
	s_and_saveexec_b64 s[2:3], s[18:19]
	s_cbranch_execz .LBB75_15
.LBB75_64:                              ;   in Loop: Header=BB75_8 Depth=1
	global_load_dword v10, v[20:21], off offset:1536
	s_or_b64 exec, exec, s[2:3]
	v_cmp_gt_u32_e64 s[16:17], s33, v35
	s_and_saveexec_b64 s[2:3], s[16:17]
	s_cbranch_execz .LBB75_16
.LBB75_65:                              ;   in Loop: Header=BB75_8 Depth=1
	global_load_dword v11, v[20:21], off offset:1792
	s_or_b64 exec, exec, s[2:3]
	v_cmp_gt_u32_e64 s[14:15], s33, v36
	s_and_saveexec_b64 s[2:3], s[14:15]
	s_cbranch_execz .LBB75_17
.LBB75_66:                              ;   in Loop: Header=BB75_8 Depth=1
	global_load_dword v12, v[20:21], off offset:2048
	s_or_b64 exec, exec, s[2:3]
	v_cmp_gt_u32_e64 s[12:13], s33, v37
	s_and_saveexec_b64 s[2:3], s[12:13]
	s_cbranch_execz .LBB75_18
.LBB75_67:                              ;   in Loop: Header=BB75_8 Depth=1
	global_load_dword v13, v[20:21], off offset:2304
	s_or_b64 exec, exec, s[2:3]
	v_cmp_gt_u32_e64 s[10:11], s33, v38
	s_and_saveexec_b64 s[2:3], s[10:11]
	s_cbranch_execz .LBB75_19
.LBB75_68:                              ;   in Loop: Header=BB75_8 Depth=1
	global_load_dword v14, v[20:21], off offset:2560
	s_or_b64 exec, exec, s[2:3]
	v_cmp_gt_u32_e64 s[8:9], s33, v39
	s_and_saveexec_b64 s[2:3], s[8:9]
	s_cbranch_execz .LBB75_20
.LBB75_69:                              ;   in Loop: Header=BB75_8 Depth=1
	global_load_dword v15, v[20:21], off offset:2816
	s_or_b64 exec, exec, s[2:3]
	v_cmp_gt_u32_e64 s[6:7], s33, v40
	s_and_saveexec_b64 s[2:3], s[6:7]
	s_cbranch_execz .LBB75_21
.LBB75_70:                              ;   in Loop: Header=BB75_8 Depth=1
	global_load_dword v16, v[20:21], off offset:3072
	s_or_b64 exec, exec, s[2:3]
	v_cmp_gt_u32_e64 s[4:5], s33, v41
	s_and_saveexec_b64 s[2:3], s[4:5]
	s_cbranch_execz .LBB75_22
.LBB75_71:                              ;   in Loop: Header=BB75_8 Depth=1
	global_load_dword v17, v[20:21], off offset:3328
	s_or_b64 exec, exec, s[2:3]
	v_cmp_gt_u32_e64 s[2:3], s33, v42
	s_and_saveexec_b64 s[34:35], s[2:3]
	s_cbranch_execz .LBB75_23
.LBB75_72:                              ;   in Loop: Header=BB75_8 Depth=1
	global_load_dword v18, v[20:21], off offset:3584
	s_or_b64 exec, exec, s[34:35]
	v_cmp_gt_u32_e32 vcc, s33, v43
	s_and_saveexec_b64 s[34:35], vcc
	s_cbranch_execnz .LBB75_24
	s_branch .LBB75_25
.LBB75_73:                              ;   in Loop: Header=BB75_8 Depth=1
	global_load_ubyte v7, v[4:5], off
	v_mov_b32_e32 v6, 0x80
	v_mov_b32_e32 v82, 0x80
	;; [unrolled: 1-line block ×14, first 2 shown]
	s_or_b64 exec, exec, s[34:35]
	v_mov_b32_e32 v95, v6
	s_and_saveexec_b64 s[30:31], s[28:29]
	s_cbranch_execz .LBB75_27
.LBB75_74:                              ;   in Loop: Header=BB75_8 Depth=1
	global_load_ubyte v95, v[4:5], off offset:64
	s_or_b64 exec, exec, s[30:31]
	s_and_saveexec_b64 s[28:29], s[26:27]
	s_cbranch_execz .LBB75_28
.LBB75_75:                              ;   in Loop: Header=BB75_8 Depth=1
	global_load_ubyte v6, v[4:5], off offset:128
	s_or_b64 exec, exec, s[28:29]
	s_and_saveexec_b64 s[26:27], s[24:25]
	s_cbranch_execz .LBB75_29
.LBB75_76:                              ;   in Loop: Header=BB75_8 Depth=1
	global_load_ubyte v82, v[4:5], off offset:192
	s_or_b64 exec, exec, s[26:27]
	s_and_saveexec_b64 s[24:25], s[22:23]
	s_cbranch_execz .LBB75_30
.LBB75_77:                              ;   in Loop: Header=BB75_8 Depth=1
	global_load_ubyte v83, v[4:5], off offset:256
	s_or_b64 exec, exec, s[24:25]
	s_and_saveexec_b64 s[22:23], s[20:21]
	s_cbranch_execz .LBB75_31
.LBB75_78:                              ;   in Loop: Header=BB75_8 Depth=1
	global_load_ubyte v84, v[4:5], off offset:320
	s_or_b64 exec, exec, s[22:23]
	s_and_saveexec_b64 s[20:21], s[18:19]
	s_cbranch_execz .LBB75_32
.LBB75_79:                              ;   in Loop: Header=BB75_8 Depth=1
	global_load_ubyte v85, v[4:5], off offset:384
	s_or_b64 exec, exec, s[20:21]
	s_and_saveexec_b64 s[18:19], s[16:17]
	s_cbranch_execz .LBB75_33
.LBB75_80:                              ;   in Loop: Header=BB75_8 Depth=1
	global_load_ubyte v86, v[4:5], off offset:448
	s_or_b64 exec, exec, s[18:19]
	s_and_saveexec_b64 s[16:17], s[14:15]
	s_cbranch_execz .LBB75_34
.LBB75_81:                              ;   in Loop: Header=BB75_8 Depth=1
	global_load_ubyte v87, v[4:5], off offset:512
	s_or_b64 exec, exec, s[16:17]
	s_and_saveexec_b64 s[14:15], s[12:13]
	s_cbranch_execz .LBB75_35
.LBB75_82:                              ;   in Loop: Header=BB75_8 Depth=1
	global_load_ubyte v88, v[4:5], off offset:576
	s_or_b64 exec, exec, s[14:15]
	s_and_saveexec_b64 s[12:13], s[10:11]
	s_cbranch_execz .LBB75_36
.LBB75_83:                              ;   in Loop: Header=BB75_8 Depth=1
	global_load_ubyte v89, v[4:5], off offset:640
	s_or_b64 exec, exec, s[12:13]
	s_and_saveexec_b64 s[10:11], s[8:9]
	s_cbranch_execz .LBB75_37
.LBB75_84:                              ;   in Loop: Header=BB75_8 Depth=1
	global_load_ubyte v90, v[4:5], off offset:704
	s_or_b64 exec, exec, s[10:11]
	s_and_saveexec_b64 s[8:9], s[6:7]
	s_cbranch_execz .LBB75_38
.LBB75_85:                              ;   in Loop: Header=BB75_8 Depth=1
	global_load_ubyte v91, v[4:5], off offset:768
	s_or_b64 exec, exec, s[8:9]
	s_and_saveexec_b64 s[6:7], s[4:5]
	s_cbranch_execz .LBB75_39
.LBB75_86:                              ;   in Loop: Header=BB75_8 Depth=1
	global_load_ubyte v92, v[4:5], off offset:832
	s_or_b64 exec, exec, s[6:7]
	s_and_saveexec_b64 s[4:5], s[2:3]
	s_cbranch_execz .LBB75_40
.LBB75_87:                              ;   in Loop: Header=BB75_8 Depth=1
	global_load_ubyte v93, v[4:5], off offset:896
	s_or_b64 exec, exec, s[4:5]
	s_and_saveexec_b64 s[2:3], vcc
	s_cbranch_execnz .LBB75_41
	s_branch .LBB75_42
.LBB75_88:                              ;   in Loop: Header=BB75_8 Depth=1
	ds_read_u8 v84, v80
	s_waitcnt lgkmcnt(0)
	v_lshlrev_b32_e32 v84, 2, v84
	ds_read_b32 v84, v84 offset:16896
	s_waitcnt lgkmcnt(0)
	v_mul_f32_e32 v84, s4, v84
	v_fma_f32 v22, s61, v84, v22
	s_and_b64 vcc, exec, s[2:3]
	s_cbranch_vccnz .LBB75_44
.LBB75_89:                              ;   in Loop: Header=BB75_8 Depth=1
	s_waitcnt lgkmcnt(0)
	v_lshlrev_b32_sdwa v84, v81, v4 dst_sel:DWORD dst_unused:UNUSED_PAD src0_sel:DWORD src1_sel:BYTE_0
	ds_read_b32 v84, v84 offset:16896
	s_waitcnt lgkmcnt(0)
	v_mul_f32_e32 v84, s4, v84
	v_fmac_f32_e32 v23, s61, v84
	s_and_b64 vcc, exec, s[2:3]
	s_cbranch_vccnz .LBB75_45
.LBB75_90:                              ;   in Loop: Header=BB75_8 Depth=1
	s_waitcnt lgkmcnt(0)
	v_lshlrev_b32_sdwa v84, v81, v4 dst_sel:DWORD dst_unused:UNUSED_PAD src0_sel:DWORD src1_sel:BYTE_1
	ds_read_b32 v84, v84 offset:16896
	s_waitcnt lgkmcnt(0)
	v_mul_f32_e32 v84, s4, v84
	v_fma_f32 v20, s61, v84, v20
	s_and_b64 vcc, exec, s[2:3]
	s_cbranch_vccnz .LBB75_46
.LBB75_91:                              ;   in Loop: Header=BB75_8 Depth=1
	s_waitcnt lgkmcnt(0)
	v_lshlrev_b32_sdwa v84, v81, v4 dst_sel:DWORD dst_unused:UNUSED_PAD src0_sel:DWORD src1_sel:BYTE_2
	ds_read_b32 v84, v84 offset:16896
	s_waitcnt lgkmcnt(0)
	v_mul_f32_e32 v84, s4, v84
	v_fmac_f32_e32 v21, s61, v84
	s_and_b64 vcc, exec, s[2:3]
	s_cbranch_vccnz .LBB75_47
.LBB75_92:                              ;   in Loop: Header=BB75_8 Depth=1
	s_waitcnt lgkmcnt(0)
	v_lshlrev_b32_sdwa v4, v81, v4 dst_sel:DWORD dst_unused:UNUSED_PAD src0_sel:DWORD src1_sel:BYTE_3
	ds_read_b32 v4, v4 offset:16896
	s_waitcnt lgkmcnt(0)
	v_mul_f32_e32 v4, s4, v4
	v_fma_f32 v18, s61, v4, v18
	s_and_b64 vcc, exec, s[2:3]
	s_cbranch_vccnz .LBB75_48
.LBB75_93:                              ;   in Loop: Header=BB75_8 Depth=1
	s_waitcnt lgkmcnt(0)
	v_lshlrev_b32_sdwa v4, v81, v5 dst_sel:DWORD dst_unused:UNUSED_PAD src0_sel:DWORD src1_sel:BYTE_0
	ds_read_b32 v4, v4 offset:16896
	s_waitcnt lgkmcnt(0)
	v_mul_f32_e32 v4, s4, v4
	v_fmac_f32_e32 v19, s61, v4
	s_and_b64 vcc, exec, s[2:3]
	s_cbranch_vccnz .LBB75_49
.LBB75_94:                              ;   in Loop: Header=BB75_8 Depth=1
	s_waitcnt lgkmcnt(0)
	v_lshlrev_b32_sdwa v4, v81, v5 dst_sel:DWORD dst_unused:UNUSED_PAD src0_sel:DWORD src1_sel:BYTE_1
	ds_read_b32 v4, v4 offset:16896
	s_waitcnt lgkmcnt(0)
	v_mul_f32_e32 v4, s4, v4
	v_fma_f32 v16, s61, v4, v16
	s_and_b64 vcc, exec, s[2:3]
	s_cbranch_vccnz .LBB75_50
.LBB75_95:                              ;   in Loop: Header=BB75_8 Depth=1
	s_waitcnt lgkmcnt(0)
	v_lshlrev_b32_sdwa v4, v81, v5 dst_sel:DWORD dst_unused:UNUSED_PAD src0_sel:DWORD src1_sel:BYTE_2
	ds_read_b32 v4, v4 offset:16896
	s_waitcnt lgkmcnt(0)
	v_mul_f32_e32 v4, s4, v4
	v_fmac_f32_e32 v17, s61, v4
	s_and_b64 vcc, exec, s[2:3]
	s_cbranch_vccnz .LBB75_51
.LBB75_96:                              ;   in Loop: Header=BB75_8 Depth=1
	s_waitcnt lgkmcnt(0)
	v_lshlrev_b32_sdwa v4, v81, v5 dst_sel:DWORD dst_unused:UNUSED_PAD src0_sel:DWORD src1_sel:BYTE_3
	ds_read_b32 v4, v4 offset:16896
	s_waitcnt lgkmcnt(0)
	v_mul_f32_e32 v4, s4, v4
	v_fma_f32 v14, s61, v4, v14
	s_and_b64 vcc, exec, s[2:3]
	s_cbranch_vccnz .LBB75_52
.LBB75_97:                              ;   in Loop: Header=BB75_8 Depth=1
	s_waitcnt lgkmcnt(0)
	v_lshlrev_b32_sdwa v4, v81, v6 dst_sel:DWORD dst_unused:UNUSED_PAD src0_sel:DWORD src1_sel:BYTE_0
	ds_read_b32 v4, v4 offset:16896
	s_waitcnt lgkmcnt(0)
	v_mul_f32_e32 v4, s4, v4
	v_fmac_f32_e32 v15, s61, v4
	s_and_b64 vcc, exec, s[2:3]
	s_cbranch_vccnz .LBB75_53
.LBB75_98:                              ;   in Loop: Header=BB75_8 Depth=1
	s_waitcnt lgkmcnt(0)
	v_lshlrev_b32_sdwa v4, v81, v6 dst_sel:DWORD dst_unused:UNUSED_PAD src0_sel:DWORD src1_sel:BYTE_1
	ds_read_b32 v4, v4 offset:16896
	s_waitcnt lgkmcnt(0)
	v_mul_f32_e32 v4, s4, v4
	v_fma_f32 v12, s61, v4, v12
	s_and_b64 vcc, exec, s[2:3]
	s_cbranch_vccnz .LBB75_54
.LBB75_99:                              ;   in Loop: Header=BB75_8 Depth=1
	s_waitcnt lgkmcnt(0)
	v_lshlrev_b32_sdwa v4, v81, v6 dst_sel:DWORD dst_unused:UNUSED_PAD src0_sel:DWORD src1_sel:BYTE_2
	ds_read_b32 v4, v4 offset:16896
	s_waitcnt lgkmcnt(0)
	v_mul_f32_e32 v4, s4, v4
	v_fmac_f32_e32 v13, s61, v4
	s_and_b64 vcc, exec, s[2:3]
	s_cbranch_vccnz .LBB75_55
.LBB75_100:                             ;   in Loop: Header=BB75_8 Depth=1
	s_waitcnt lgkmcnt(0)
	v_lshlrev_b32_sdwa v4, v81, v6 dst_sel:DWORD dst_unused:UNUSED_PAD src0_sel:DWORD src1_sel:BYTE_3
	ds_read_b32 v4, v4 offset:16896
	s_waitcnt lgkmcnt(0)
	v_mul_f32_e32 v4, s4, v4
	v_fma_f32 v10, s61, v4, v10
	s_and_b64 vcc, exec, s[2:3]
	s_cbranch_vccnz .LBB75_56
.LBB75_101:                             ;   in Loop: Header=BB75_8 Depth=1
	s_waitcnt lgkmcnt(0)
	v_lshlrev_b32_sdwa v4, v81, v83 dst_sel:DWORD dst_unused:UNUSED_PAD src0_sel:DWORD src1_sel:BYTE_0
	ds_read_b32 v4, v4 offset:16896
	s_waitcnt lgkmcnt(0)
	v_mul_f32_e32 v4, s4, v4
	v_fmac_f32_e32 v11, s61, v4
	s_and_b64 vcc, exec, s[2:3]
	s_cbranch_vccnz .LBB75_57
.LBB75_102:                             ;   in Loop: Header=BB75_8 Depth=1
	s_waitcnt lgkmcnt(0)
	v_lshlrev_b32_sdwa v4, v81, v82 dst_sel:DWORD dst_unused:UNUSED_PAD src0_sel:DWORD src1_sel:BYTE_0
	ds_read_b32 v4, v4 offset:16896
	s_waitcnt lgkmcnt(0)
	v_mul_f32_e32 v4, s4, v4
	v_fma_f32 v8, s61, v4, v8
	s_and_b64 vcc, exec, s[2:3]
	s_cbranch_vccnz .LBB75_7
.LBB75_103:                             ;   in Loop: Header=BB75_8 Depth=1
	s_waitcnt lgkmcnt(0)
	v_lshlrev_b32_sdwa v4, v81, v7 dst_sel:DWORD dst_unused:UNUSED_PAD src0_sel:DWORD src1_sel:BYTE_0
	ds_read_b32 v4, v4 offset:16896
	s_waitcnt lgkmcnt(0)
	v_mul_f32_e32 v4, s4, v4
	v_fmac_f32_e32 v9, s61, v4
	s_branch .LBB75_7
.LBB75_104:
	v_and_b32_e32 v2, 63, v1
	v_cmp_ne_u32_e32 vcc, 63, v2
	v_addc_co_u32_e32 v3, vcc, 0, v1, vcc
	v_lshlrev_b32_e32 v4, 2, v3
	ds_bpermute_b32 v3, v4, v53
	v_sub_u32_e64 v10, s33, v25 clamp
	v_add_u32_e32 v5, 1, v1
	v_cmp_gt_u32_e64 s[0:1], 62, v2
	v_add_u32_e32 v7, 2, v1
	s_waitcnt lgkmcnt(0)
	v_cmp_lt_f32_e32 vcc, v53, v3
	v_cndmask_b32_e32 v3, v53, v3, vcc
	v_cmp_lt_u32_e32 vcc, v5, v10
	v_cndmask_b32_e64 v5, 0, 1, s[0:1]
	v_lshlrev_b32_e32 v5, 1, v5
	v_cndmask_b32_e32 v3, v53, v3, vcc
	v_add_lshl_u32 v5, v5, v1, 2
	ds_bpermute_b32 v6, v5, v3
	v_cmp_gt_u32_e64 s[2:3], 60, v2
	v_add_u32_e32 v8, 4, v1
	v_cmp_gt_u32_e64 s[4:5], 56, v2
	v_add_u32_e32 v9, 8, v1
	s_waitcnt lgkmcnt(0)
	v_cmp_lt_f32_e64 s[0:1], v3, v6
	v_cndmask_b32_e64 v6, v3, v6, s[0:1]
	v_cmp_lt_u32_e64 s[0:1], v7, v10
	v_cndmask_b32_e64 v3, v3, v6, s[0:1]
	v_cndmask_b32_e64 v6, 0, 1, s[2:3]
	v_lshlrev_b32_e32 v6, 2, v6
	v_add_lshl_u32 v6, v6, v1, 2
	ds_bpermute_b32 v7, v6, v3
	v_cmp_gt_u32_e64 s[6:7], 48, v2
	v_cmp_gt_u32_e64 s[8:9], 32, v2
	v_add_u32_e32 v11, 16, v1
	v_cndmask_b32_e64 v2, 0, 1, s[8:9]
	s_waitcnt lgkmcnt(0)
	v_cmp_lt_f32_e64 s[2:3], v3, v7
	v_cndmask_b32_e64 v7, v3, v7, s[2:3]
	v_cmp_lt_u32_e64 s[2:3], v8, v10
	v_cndmask_b32_e64 v3, v3, v7, s[2:3]
	v_cndmask_b32_e64 v7, 0, 1, s[4:5]
	v_lshlrev_b32_e32 v7, 3, v7
	v_add_lshl_u32 v7, v7, v1, 2
	ds_bpermute_b32 v8, v7, v3
	v_lshlrev_b32_e32 v2, 5, v2
	s_waitcnt lgkmcnt(0)
	s_barrier
	v_cmp_lt_f32_e64 s[4:5], v3, v8
	v_cndmask_b32_e64 v8, v3, v8, s[4:5]
	v_cmp_lt_u32_e64 s[4:5], v9, v10
	v_cndmask_b32_e64 v3, v3, v8, s[4:5]
	v_cndmask_b32_e64 v8, 0, 1, s[6:7]
	v_lshlrev_b32_e32 v8, 4, v8
	v_add_lshl_u32 v8, v8, v1, 2
	ds_bpermute_b32 v9, v8, v3
	s_or_b64 s[6:7], vcc, s[0:1]
	s_or_b64 s[10:11], s[2:3], s[6:7]
	s_or_b64 s[8:9], s[4:5], s[10:11]
	s_waitcnt lgkmcnt(0)
	v_cmp_lt_f32_e64 s[6:7], v3, v9
	v_cndmask_b32_e64 v9, v3, v9, s[6:7]
	v_cmp_lt_u32_e64 s[6:7], v11, v10
	v_cndmask_b32_e64 v3, v3, v9, s[6:7]
	v_add_lshl_u32 v9, v2, v1, 2
	ds_bpermute_b32 v2, v9, v3
	v_add_u32_e32 v11, 32, v1
	s_or_b64 s[12:13], s[6:7], s[8:9]
	v_cmp_lt_u32_e64 s[8:9], v11, v10
	s_waitcnt lgkmcnt(0)
	v_cmp_lt_f32_e64 s[10:11], v3, v2
	s_and_b64 s[10:11], s[8:9], s[10:11]
	v_cndmask_b32_e64 v2, v3, v2, s[10:11]
	s_or_b64 s[10:11], s[8:9], s[12:13]
	v_cndmask_b32_e64 v2, v53, v2, s[10:11]
	v_cmp_eq_u32_e64 s[12:13], 0, v1
	s_and_saveexec_b64 s[10:11], s[12:13]
	s_cbranch_execz .LBB75_106
; %bb.105:
	v_lshrrev_b32_e32 v3, 4, v0
	v_and_b32_e32 v3, 12, v3
	ds_write_b32 v3, v2
.LBB75_106:
	s_or_b64 exec, exec, s[10:11]
	v_cmp_gt_u32_e64 s[10:11], 4, v0
	s_waitcnt lgkmcnt(0)
	s_barrier
	s_and_saveexec_b64 s[20:21], s[10:11]
	s_cbranch_execz .LBB75_108
; %bb.107:
	v_lshlrev_b32_e32 v2, 2, v1
	ds_read_b32 v2, v2
	v_and_b32_e32 v3, 3, v1
	v_cmp_ne_u32_e64 s[14:15], 3, v3
	v_addc_co_u32_e64 v10, s[14:15], 0, v1, s[14:15]
	v_lshlrev_b32_e32 v10, 2, v10
	s_waitcnt lgkmcnt(0)
	ds_bpermute_b32 v10, v10, v2
	s_add_i32 s14, s33, 63
	v_cmp_gt_u32_e64 s[16:17], 2, v3
	s_lshr_b32 s18, s14, 6
	v_add_u32_e32 v11, 1, v3
	s_waitcnt lgkmcnt(0)
	v_cmp_lt_f32_e64 s[14:15], v2, v10
	v_cndmask_b32_e64 v12, 0, 1, s[16:17]
	v_cndmask_b32_e64 v10, v2, v10, s[14:15]
	v_cmp_gt_u32_e64 s[14:15], s18, v11
	v_lshlrev_b32_e32 v12, 1, v12
	v_cndmask_b32_e64 v11, v2, v10, s[14:15]
	v_add_lshl_u32 v12, v12, v1, 2
	ds_bpermute_b32 v11, v12, v11
	v_add_u32_e32 v3, 2, v3
	v_cmp_gt_u32_e64 s[16:17], s18, v3
	s_waitcnt lgkmcnt(0)
	v_cmp_lt_f32_e64 s[18:19], v10, v11
	s_and_b64 s[16:17], s[16:17], s[18:19]
	v_cndmask_b32_e64 v3, v10, v11, s[16:17]
	v_cndmask_b32_e64 v2, v2, v3, s[14:15]
.LBB75_108:
	s_or_b64 exec, exec, s[20:21]
	v_cmp_eq_u32_e64 s[14:15], 0, v0
	s_and_saveexec_b64 s[20:21], s[14:15]
	s_cbranch_execz .LBB75_113
; %bb.109:
	v_mov_b32_e32 v10, 0
	global_load_dword v3, v10, s[54:55] glc
	s_brev_b32 s18, 1
	v_cmp_eq_f32_e64 s[16:17], 0, v2
	s_mov_b64 s[22:23], 0
                                        ; implicit-def: $sgpr24_sgpr25
                                        ; implicit-def: $sgpr28_sgpr29
	s_waitcnt vmcnt(0)
	v_cmp_eq_u32_e64 s[26:27], s18, v3
	s_branch .LBB75_111
.LBB75_110:                             ;   in Loop: Header=BB75_111 Depth=1
	s_or_b64 exec, exec, s[30:31]
	s_and_b64 s[18:19], exec, s[24:25]
	s_or_b64 s[22:23], s[18:19], s[22:23]
	s_andn2_b64 s[18:19], s[26:27], exec
	s_and_b64 s[26:27], s[28:29], exec
	s_or_b64 s[26:27], s[18:19], s[26:27]
	s_andn2_b64 exec, exec, s[22:23]
	s_cbranch_execz .LBB75_113
.LBB75_111:                             ; =>This Inner Loop Header: Depth=1
	v_cmp_lt_f32_e64 s[18:19], v3, v2
	s_and_b64 s[30:31], s[16:17], s[26:27]
	s_or_b64 s[18:19], s[18:19], s[30:31]
	s_andn2_b64 s[28:29], s[28:29], exec
	s_or_b64 s[24:25], s[24:25], exec
	s_and_saveexec_b64 s[30:31], s[18:19]
	s_cbranch_execz .LBB75_110
; %bb.112:                              ;   in Loop: Header=BB75_111 Depth=1
	global_atomic_cmpswap v11, v10, v[2:3], s[54:55] glc
	s_andn2_b64 s[28:29], s[28:29], exec
	s_andn2_b64 s[24:25], s[24:25], exec
                                        ; implicit-def: $sgpr26_sgpr27
	s_waitcnt vmcnt(0)
	v_cmp_eq_u32_e64 s[18:19], v11, v3
	v_cndmask_b32_e64 v3, v11, v3, s[18:19]
	v_cmp_class_f32_e64 s[34:35], v3, 32
	s_and_b64 s[18:19], s[18:19], exec
	s_and_b64 s[34:35], s[34:35], exec
	s_or_b64 s[24:25], s[24:25], s[18:19]
	s_or_b64 s[28:29], s[28:29], s[34:35]
	v_mov_b32_e32 v3, v11
	s_branch .LBB75_110
.LBB75_113:
	s_or_b64 exec, exec, s[20:21]
	s_cmp_eq_u64 s[56:57], 0
	s_cbranch_scc1 .LBB75_124
; %bb.114:
	ds_bpermute_b32 v2, v4, v24
	s_waitcnt lgkmcnt(0)
	s_barrier
	v_add_f32_e32 v2, v24, v2
	v_cndmask_b32_e32 v2, v24, v2, vcc
	ds_bpermute_b32 v3, v5, v2
	s_waitcnt lgkmcnt(0)
	v_add_f32_e32 v3, v2, v3
	v_cndmask_b32_e64 v2, v2, v3, s[0:1]
	ds_bpermute_b32 v3, v6, v2
	s_waitcnt lgkmcnt(0)
	v_add_f32_e32 v3, v2, v3
	v_cndmask_b32_e64 v2, v2, v3, s[2:3]
	;; [unrolled: 4-line block ×5, first 2 shown]
	s_and_saveexec_b64 s[0:1], s[12:13]
	s_cbranch_execz .LBB75_116
; %bb.115:
	v_lshrrev_b32_e32 v0, 4, v0
	v_and_b32_e32 v0, 12, v0
	ds_write_b32 v0, v2
.LBB75_116:
	s_or_b64 exec, exec, s[0:1]
	s_waitcnt lgkmcnt(0)
	s_barrier
	s_and_saveexec_b64 s[2:3], s[10:11]
	s_cbranch_execz .LBB75_118
; %bb.117:
	v_lshlrev_b32_e32 v0, 2, v1
	ds_read_b32 v0, v0
	v_and_b32_e32 v2, 3, v1
	v_cmp_ne_u32_e32 vcc, 3, v2
	v_addc_co_u32_e32 v3, vcc, 0, v1, vcc
	v_lshlrev_b32_e32 v3, 2, v3
	s_waitcnt lgkmcnt(0)
	ds_bpermute_b32 v3, v3, v0
	s_add_i32 s33, s33, 63
	s_lshr_b32 s4, s33, 6
	v_add_u32_e32 v4, 1, v2
	v_cmp_gt_u32_e64 s[0:1], 2, v2
	v_cmp_gt_u32_e32 vcc, s4, v4
	v_cndmask_b32_e64 v4, 0, 1, s[0:1]
	s_waitcnt lgkmcnt(0)
	v_add_f32_e32 v3, v0, v3
	v_lshlrev_b32_e32 v4, 1, v4
	v_cndmask_b32_e32 v3, v0, v3, vcc
	v_add_lshl_u32 v1, v4, v1, 2
	ds_bpermute_b32 v1, v1, v3
	v_add_u32_e32 v2, 2, v2
	v_cmp_gt_u32_e64 s[0:1], s4, v2
	s_waitcnt lgkmcnt(0)
	v_add_f32_e32 v1, v3, v1
	v_cndmask_b32_e64 v1, v3, v1, s[0:1]
	v_cndmask_b32_e32 v2, v0, v1, vcc
.LBB75_118:
	s_or_b64 exec, exec, s[2:3]
	s_and_saveexec_b64 s[0:1], s[14:15]
	s_cbranch_execz .LBB75_124
; %bb.119:
	s_mov_b64 s[0:1], exec
	v_bfrev_b32_e32 v3, 1
.LBB75_120:                             ; =>This Inner Loop Header: Depth=1
	s_ff1_i32_b64 s2, s[0:1]
	v_readlane_b32 s4, v2, s2
	s_lshl_b64 s[2:3], 1, s2
	s_andn2_b64 s[0:1], s[0:1], s[2:3]
	s_cmp_lg_u64 s[0:1], 0
	v_add_f32_e32 v3, s4, v3
	s_cbranch_scc1 .LBB75_120
; %bb.121:
	v_mbcnt_lo_u32_b32 v0, exec_lo, 0
	v_mbcnt_hi_u32_b32 v0, exec_hi, v0
	v_cmp_eq_u32_e32 vcc, 0, v0
	s_and_saveexec_b64 s[0:1], vcc
	s_xor_b64 s[0:1], exec, s[0:1]
	s_cbranch_execz .LBB75_124
; %bb.122:
	v_mov_b32_e32 v2, 0
	global_load_dword v1, v2, s[56:57]
	s_mov_b64 s[0:1], 0
.LBB75_123:                             ; =>This Inner Loop Header: Depth=1
	s_waitcnt vmcnt(0)
	v_add_f32_e32 v0, v1, v3
	global_atomic_cmpswap v0, v2, v[0:1], s[56:57] glc
	s_waitcnt vmcnt(0)
	v_cmp_eq_u32_e32 vcc, v0, v1
	s_or_b64 s[0:1], vcc, s[0:1]
	v_mov_b32_e32 v1, v0
	s_andn2_b64 exec, exec, s[0:1]
	s_cbranch_execnz .LBB75_123
.LBB75_124:
	s_endpgm
	.section	.rodata,"a",@progbits
	.p2align	6, 0x0
	.amdhsa_kernel _Z38kPreconditionOptimizerStatic8bit1StateIfLi1EEvPT_S1_PhPffffiS3_S3_S3_ffi
		.amdhsa_group_segment_fixed_size 17920
		.amdhsa_private_segment_fixed_size 0
		.amdhsa_kernarg_size 344
		.amdhsa_user_sgpr_count 6
		.amdhsa_user_sgpr_private_segment_buffer 1
		.amdhsa_user_sgpr_dispatch_ptr 0
		.amdhsa_user_sgpr_queue_ptr 0
		.amdhsa_user_sgpr_kernarg_segment_ptr 1
		.amdhsa_user_sgpr_dispatch_id 0
		.amdhsa_user_sgpr_flat_scratch_init 0
		.amdhsa_user_sgpr_kernarg_preload_length 0
		.amdhsa_user_sgpr_kernarg_preload_offset 0
		.amdhsa_user_sgpr_private_segment_size 0
		.amdhsa_uses_dynamic_stack 0
		.amdhsa_system_sgpr_private_segment_wavefront_offset 0
		.amdhsa_system_sgpr_workgroup_id_x 1
		.amdhsa_system_sgpr_workgroup_id_y 0
		.amdhsa_system_sgpr_workgroup_id_z 0
		.amdhsa_system_sgpr_workgroup_info 0
		.amdhsa_system_vgpr_workitem_id 0
		.amdhsa_next_free_vgpr 96
		.amdhsa_next_free_sgpr 63
		.amdhsa_accum_offset 96
		.amdhsa_reserve_vcc 1
		.amdhsa_reserve_flat_scratch 0
		.amdhsa_float_round_mode_32 0
		.amdhsa_float_round_mode_16_64 0
		.amdhsa_float_denorm_mode_32 3
		.amdhsa_float_denorm_mode_16_64 3
		.amdhsa_dx10_clamp 1
		.amdhsa_ieee_mode 1
		.amdhsa_fp16_overflow 0
		.amdhsa_tg_split 0
		.amdhsa_exception_fp_ieee_invalid_op 0
		.amdhsa_exception_fp_denorm_src 0
		.amdhsa_exception_fp_ieee_div_zero 0
		.amdhsa_exception_fp_ieee_overflow 0
		.amdhsa_exception_fp_ieee_underflow 0
		.amdhsa_exception_fp_ieee_inexact 0
		.amdhsa_exception_int_div_zero 0
	.end_amdhsa_kernel
	.section	.text._Z38kPreconditionOptimizerStatic8bit1StateIfLi1EEvPT_S1_PhPffffiS3_S3_S3_ffi,"axG",@progbits,_Z38kPreconditionOptimizerStatic8bit1StateIfLi1EEvPT_S1_PhPffffiS3_S3_S3_ffi,comdat
.Lfunc_end75:
	.size	_Z38kPreconditionOptimizerStatic8bit1StateIfLi1EEvPT_S1_PhPffffiS3_S3_S3_ffi, .Lfunc_end75-_Z38kPreconditionOptimizerStatic8bit1StateIfLi1EEvPT_S1_PhPffffiS3_S3_S3_ffi
                                        ; -- End function
	.section	.AMDGPU.csdata,"",@progbits
; Kernel info:
; codeLenInByte = 5412
; NumSgprs: 67
; NumVgprs: 96
; NumAgprs: 0
; TotalNumVgprs: 96
; ScratchSize: 0
; MemoryBound: 0
; FloatMode: 240
; IeeeMode: 1
; LDSByteSize: 17920 bytes/workgroup (compile time only)
; SGPRBlocks: 8
; VGPRBlocks: 11
; NumSGPRsForWavesPerEU: 67
; NumVGPRsForWavesPerEU: 96
; AccumOffset: 96
; Occupancy: 3
; WaveLimiterHint : 0
; COMPUTE_PGM_RSRC2:SCRATCH_EN: 0
; COMPUTE_PGM_RSRC2:USER_SGPR: 6
; COMPUTE_PGM_RSRC2:TRAP_HANDLER: 0
; COMPUTE_PGM_RSRC2:TGID_X_EN: 1
; COMPUTE_PGM_RSRC2:TGID_Y_EN: 0
; COMPUTE_PGM_RSRC2:TGID_Z_EN: 0
; COMPUTE_PGM_RSRC2:TIDIG_COMP_CNT: 0
; COMPUTE_PGM_RSRC3_GFX90A:ACCUM_OFFSET: 23
; COMPUTE_PGM_RSRC3_GFX90A:TG_SPLIT: 0
	.section	.text._Z38kPreconditionOptimizerStatic8bit1StateI6__halfLi2EEvPT_S2_PhPffffiS4_S4_S4_ffi,"axG",@progbits,_Z38kPreconditionOptimizerStatic8bit1StateI6__halfLi2EEvPT_S2_PhPffffiS4_S4_S4_ffi,comdat
